;; amdgpu-corpus repo=ROCm/rocFFT kind=compiled arch=gfx906 opt=O3
	.text
	.amdgcn_target "amdgcn-amd-amdhsa--gfx906"
	.amdhsa_code_object_version 6
	.protected	fft_rtc_fwd_len91_factors_7_13_wgs_247_tpt_13_dp_op_CI_CI_unitstride_sbrr_dirReg ; -- Begin function fft_rtc_fwd_len91_factors_7_13_wgs_247_tpt_13_dp_op_CI_CI_unitstride_sbrr_dirReg
	.globl	fft_rtc_fwd_len91_factors_7_13_wgs_247_tpt_13_dp_op_CI_CI_unitstride_sbrr_dirReg
	.p2align	8
	.type	fft_rtc_fwd_len91_factors_7_13_wgs_247_tpt_13_dp_op_CI_CI_unitstride_sbrr_dirReg,@function
fft_rtc_fwd_len91_factors_7_13_wgs_247_tpt_13_dp_op_CI_CI_unitstride_sbrr_dirReg: ; @fft_rtc_fwd_len91_factors_7_13_wgs_247_tpt_13_dp_op_CI_CI_unitstride_sbrr_dirReg
; %bb.0:
	s_load_dwordx4 s[8:11], s[4:5], 0x58
	s_load_dwordx4 s[12:15], s[4:5], 0x0
	;; [unrolled: 1-line block ×3, first 2 shown]
	v_mul_u32_u24_e32 v1, 0x13b2, v0
	v_lshrrev_b32_e32 v1, 16, v1
	v_mad_u64_u32 v[28:29], s[0:1], s6, 19, v[1:2]
	v_mov_b32_e32 v1, 0
	v_mov_b32_e32 v4, 0
	;; [unrolled: 1-line block ×3, first 2 shown]
	s_waitcnt lgkmcnt(0)
	v_cmp_lt_u64_e64 s[0:1], s[14:15], 2
	v_mov_b32_e32 v5, 0
	v_mov_b32_e32 v53, v5
	;; [unrolled: 1-line block ×3, first 2 shown]
	s_and_b64 vcc, exec, s[0:1]
	v_mov_b32_e32 v52, v4
	v_mov_b32_e32 v54, v28
	s_cbranch_vccnz .LBB0_8
; %bb.1:
	s_load_dwordx2 s[0:1], s[4:5], 0x10
	s_add_u32 s2, s18, 8
	s_addc_u32 s3, s19, 0
	s_add_u32 s6, s16, 8
	v_mov_b32_e32 v4, 0
	s_addc_u32 s7, s17, 0
	v_mov_b32_e32 v5, 0
	s_waitcnt lgkmcnt(0)
	s_add_u32 s20, s0, 8
	v_mov_b32_e32 v53, v5
	v_mov_b32_e32 v6, v28
	s_addc_u32 s21, s1, 0
	s_mov_b64 s[22:23], 1
	v_mov_b32_e32 v52, v4
	v_mov_b32_e32 v7, v29
.LBB0_2:                                ; =>This Inner Loop Header: Depth=1
	s_load_dwordx2 s[24:25], s[20:21], 0x0
                                        ; implicit-def: $vgpr54_vgpr55
	s_waitcnt lgkmcnt(0)
	v_or_b32_e32 v2, s25, v7
	v_cmp_ne_u64_e32 vcc, 0, v[1:2]
	s_and_saveexec_b64 s[0:1], vcc
	s_xor_b64 s[26:27], exec, s[0:1]
	s_cbranch_execz .LBB0_4
; %bb.3:                                ;   in Loop: Header=BB0_2 Depth=1
	v_cvt_f32_u32_e32 v2, s24
	v_cvt_f32_u32_e32 v3, s25
	s_sub_u32 s0, 0, s24
	s_subb_u32 s1, 0, s25
	v_mac_f32_e32 v2, 0x4f800000, v3
	v_rcp_f32_e32 v2, v2
	v_mul_f32_e32 v2, 0x5f7ffffc, v2
	v_mul_f32_e32 v3, 0x2f800000, v2
	v_trunc_f32_e32 v3, v3
	v_mac_f32_e32 v2, 0xcf800000, v3
	v_cvt_u32_f32_e32 v3, v3
	v_cvt_u32_f32_e32 v2, v2
	v_mul_lo_u32 v8, s0, v3
	v_mul_hi_u32 v9, s0, v2
	v_mul_lo_u32 v11, s1, v2
	v_mul_lo_u32 v10, s0, v2
	v_add_u32_e32 v8, v9, v8
	v_add_u32_e32 v8, v8, v11
	v_mul_hi_u32 v9, v2, v10
	v_mul_lo_u32 v11, v2, v8
	v_mul_hi_u32 v13, v2, v8
	v_mul_hi_u32 v12, v3, v10
	v_mul_lo_u32 v10, v3, v10
	v_mul_hi_u32 v14, v3, v8
	v_add_co_u32_e32 v9, vcc, v9, v11
	v_addc_co_u32_e32 v11, vcc, 0, v13, vcc
	v_mul_lo_u32 v8, v3, v8
	v_add_co_u32_e32 v9, vcc, v9, v10
	v_addc_co_u32_e32 v9, vcc, v11, v12, vcc
	v_addc_co_u32_e32 v10, vcc, 0, v14, vcc
	v_add_co_u32_e32 v8, vcc, v9, v8
	v_addc_co_u32_e32 v9, vcc, 0, v10, vcc
	v_add_co_u32_e32 v2, vcc, v2, v8
	v_addc_co_u32_e32 v3, vcc, v3, v9, vcc
	v_mul_lo_u32 v8, s0, v3
	v_mul_hi_u32 v9, s0, v2
	v_mul_lo_u32 v10, s1, v2
	v_mul_lo_u32 v11, s0, v2
	v_add_u32_e32 v8, v9, v8
	v_add_u32_e32 v8, v8, v10
	v_mul_lo_u32 v12, v2, v8
	v_mul_hi_u32 v13, v2, v11
	v_mul_hi_u32 v14, v2, v8
	;; [unrolled: 1-line block ×3, first 2 shown]
	v_mul_lo_u32 v11, v3, v11
	v_mul_hi_u32 v9, v3, v8
	v_add_co_u32_e32 v12, vcc, v13, v12
	v_addc_co_u32_e32 v13, vcc, 0, v14, vcc
	v_mul_lo_u32 v8, v3, v8
	v_add_co_u32_e32 v11, vcc, v12, v11
	v_addc_co_u32_e32 v10, vcc, v13, v10, vcc
	v_addc_co_u32_e32 v9, vcc, 0, v9, vcc
	v_add_co_u32_e32 v8, vcc, v10, v8
	v_addc_co_u32_e32 v9, vcc, 0, v9, vcc
	v_add_co_u32_e32 v8, vcc, v2, v8
	v_addc_co_u32_e32 v9, vcc, v3, v9, vcc
	v_mad_u64_u32 v[2:3], s[0:1], v6, v9, 0
	v_mul_hi_u32 v10, v6, v8
	v_add_co_u32_e32 v10, vcc, v10, v2
	v_addc_co_u32_e32 v11, vcc, 0, v3, vcc
	v_mad_u64_u32 v[2:3], s[0:1], v7, v8, 0
	v_mad_u64_u32 v[8:9], s[0:1], v7, v9, 0
	v_add_co_u32_e32 v2, vcc, v10, v2
	v_addc_co_u32_e32 v2, vcc, v11, v3, vcc
	v_addc_co_u32_e32 v3, vcc, 0, v9, vcc
	v_add_co_u32_e32 v8, vcc, v2, v8
	v_addc_co_u32_e32 v9, vcc, 0, v3, vcc
	v_mul_lo_u32 v10, s25, v8
	v_mul_lo_u32 v11, s24, v9
	v_mad_u64_u32 v[2:3], s[0:1], s24, v8, 0
	v_add3_u32 v3, v3, v11, v10
	v_sub_u32_e32 v10, v7, v3
	v_mov_b32_e32 v11, s25
	v_sub_co_u32_e32 v2, vcc, v6, v2
	v_subb_co_u32_e64 v10, s[0:1], v10, v11, vcc
	v_subrev_co_u32_e64 v11, s[0:1], s24, v2
	v_subbrev_co_u32_e64 v10, s[0:1], 0, v10, s[0:1]
	v_cmp_le_u32_e64 s[0:1], s25, v10
	v_cndmask_b32_e64 v12, 0, -1, s[0:1]
	v_cmp_le_u32_e64 s[0:1], s24, v11
	v_cndmask_b32_e64 v11, 0, -1, s[0:1]
	v_cmp_eq_u32_e64 s[0:1], s25, v10
	v_cndmask_b32_e64 v10, v12, v11, s[0:1]
	v_add_co_u32_e64 v11, s[0:1], 2, v8
	v_addc_co_u32_e64 v12, s[0:1], 0, v9, s[0:1]
	v_add_co_u32_e64 v13, s[0:1], 1, v8
	v_addc_co_u32_e64 v14, s[0:1], 0, v9, s[0:1]
	v_subb_co_u32_e32 v3, vcc, v7, v3, vcc
	v_cmp_ne_u32_e64 s[0:1], 0, v10
	v_cmp_le_u32_e32 vcc, s25, v3
	v_cndmask_b32_e64 v10, v14, v12, s[0:1]
	v_cndmask_b32_e64 v12, 0, -1, vcc
	v_cmp_le_u32_e32 vcc, s24, v2
	v_cndmask_b32_e64 v2, 0, -1, vcc
	v_cmp_eq_u32_e32 vcc, s25, v3
	v_cndmask_b32_e32 v2, v12, v2, vcc
	v_cmp_ne_u32_e32 vcc, 0, v2
	v_cndmask_b32_e64 v2, v13, v11, s[0:1]
	v_cndmask_b32_e32 v55, v9, v10, vcc
	v_cndmask_b32_e32 v54, v8, v2, vcc
.LBB0_4:                                ;   in Loop: Header=BB0_2 Depth=1
	s_andn2_saveexec_b64 s[0:1], s[26:27]
	s_cbranch_execz .LBB0_6
; %bb.5:                                ;   in Loop: Header=BB0_2 Depth=1
	v_cvt_f32_u32_e32 v2, s24
	s_sub_i32 s26, 0, s24
	v_mov_b32_e32 v55, v1
	v_rcp_iflag_f32_e32 v2, v2
	v_mul_f32_e32 v2, 0x4f7ffffe, v2
	v_cvt_u32_f32_e32 v2, v2
	v_mul_lo_u32 v3, s26, v2
	v_mul_hi_u32 v3, v2, v3
	v_add_u32_e32 v2, v2, v3
	v_mul_hi_u32 v2, v6, v2
	v_mul_lo_u32 v3, v2, s24
	v_add_u32_e32 v8, 1, v2
	v_sub_u32_e32 v3, v6, v3
	v_subrev_u32_e32 v9, s24, v3
	v_cmp_le_u32_e32 vcc, s24, v3
	v_cndmask_b32_e32 v3, v3, v9, vcc
	v_cndmask_b32_e32 v2, v2, v8, vcc
	v_add_u32_e32 v8, 1, v2
	v_cmp_le_u32_e32 vcc, s24, v3
	v_cndmask_b32_e32 v54, v2, v8, vcc
.LBB0_6:                                ;   in Loop: Header=BB0_2 Depth=1
	s_or_b64 exec, exec, s[0:1]
	v_mul_lo_u32 v8, v55, s24
	v_mul_lo_u32 v9, v54, s25
	v_mad_u64_u32 v[2:3], s[0:1], v54, s24, 0
	s_load_dwordx2 s[0:1], s[6:7], 0x0
	s_load_dwordx2 s[24:25], s[2:3], 0x0
	v_add3_u32 v3, v3, v9, v8
	v_sub_co_u32_e32 v2, vcc, v6, v2
	v_subb_co_u32_e32 v3, vcc, v7, v3, vcc
	s_waitcnt lgkmcnt(0)
	v_mul_lo_u32 v6, s0, v3
	v_mul_lo_u32 v7, s1, v2
	v_mad_u64_u32 v[4:5], s[0:1], s0, v2, v[4:5]
	v_mul_lo_u32 v3, s24, v3
	v_mul_lo_u32 v8, s25, v2
	v_mad_u64_u32 v[52:53], s[0:1], s24, v2, v[52:53]
	s_add_u32 s22, s22, 1
	s_addc_u32 s23, s23, 0
	s_add_u32 s2, s2, 8
	v_add3_u32 v53, v8, v53, v3
	s_addc_u32 s3, s3, 0
	v_mov_b32_e32 v2, s14
	s_add_u32 s6, s6, 8
	v_mov_b32_e32 v3, s15
	s_addc_u32 s7, s7, 0
	v_cmp_ge_u64_e32 vcc, s[22:23], v[2:3]
	s_add_u32 s20, s20, 8
	v_add3_u32 v5, v7, v5, v6
	s_addc_u32 s21, s21, 0
	s_cbranch_vccnz .LBB0_8
; %bb.7:                                ;   in Loop: Header=BB0_2 Depth=1
	v_mov_b32_e32 v6, v54
	v_mov_b32_e32 v7, v55
	s_branch .LBB0_2
.LBB0_8:
	s_load_dwordx2 s[0:1], s[4:5], 0x28
	s_lshl_b64 s[6:7], s[14:15], 3
	s_add_u32 s2, s18, s6
	s_addc_u32 s3, s19, s7
                                        ; implicit-def: $vgpr56
	s_waitcnt lgkmcnt(0)
	v_cmp_gt_u64_e32 vcc, s[0:1], v[54:55]
	v_cmp_le_u64_e64 s[0:1], s[0:1], v[54:55]
	s_and_saveexec_b64 s[4:5], s[0:1]
	s_xor_b64 s[0:1], exec, s[4:5]
; %bb.9:
	s_mov_b32 s4, 0x13b13b14
	v_mul_hi_u32 v1, v0, s4
                                        ; implicit-def: $vgpr4_vgpr5
	v_mul_u32_u24_e32 v1, 13, v1
	v_sub_u32_e32 v56, v0, v1
                                        ; implicit-def: $vgpr0
; %bb.10:
	s_or_saveexec_b64 s[4:5], s[0:1]
                                        ; implicit-def: $vgpr26_vgpr27
                                        ; implicit-def: $vgpr22_vgpr23
                                        ; implicit-def: $vgpr18_vgpr19
                                        ; implicit-def: $vgpr14_vgpr15
                                        ; implicit-def: $vgpr10_vgpr11
                                        ; implicit-def: $vgpr6_vgpr7
                                        ; implicit-def: $vgpr2_vgpr3
	s_xor_b64 exec, exec, s[4:5]
	s_cbranch_execz .LBB0_12
; %bb.11:
	s_add_u32 s0, s16, s6
	s_addc_u32 s1, s17, s7
	s_load_dwordx2 s[0:1], s[0:1], 0x0
	s_mov_b32 s6, 0x13b13b14
	v_mul_hi_u32 v3, v0, s6
	s_waitcnt lgkmcnt(0)
	v_mul_lo_u32 v6, s1, v54
	v_mul_lo_u32 v7, s0, v55
	v_mad_u64_u32 v[1:2], s[0:1], s0, v54, 0
	v_mul_u32_u24_e32 v3, 13, v3
	v_sub_u32_e32 v56, v0, v3
	v_add3_u32 v2, v2, v7, v6
	v_lshlrev_b64 v[0:1], 4, v[1:2]
	v_mov_b32_e32 v2, s9
	v_add_co_u32_e64 v3, s[0:1], s8, v0
	v_addc_co_u32_e64 v2, s[0:1], v2, v1, s[0:1]
	v_lshlrev_b64 v[0:1], 4, v[4:5]
	v_add_co_u32_e64 v0, s[0:1], v3, v0
	v_addc_co_u32_e64 v1, s[0:1], v2, v1, s[0:1]
	v_lshlrev_b32_e32 v2, 4, v56
	v_add_co_u32_e64 v29, s[0:1], v0, v2
	v_addc_co_u32_e64 v30, s[0:1], 0, v1, s[0:1]
	global_load_dwordx4 v[0:3], v[29:30], off
	global_load_dwordx4 v[4:7], v[29:30], off offset:208
	global_load_dwordx4 v[8:11], v[29:30], off offset:416
	;; [unrolled: 1-line block ×6, first 2 shown]
.LBB0_12:
	s_or_b64 exec, exec, s[4:5]
	s_waitcnt vmcnt(0)
	v_add_f64 v[29:30], v[24:25], v[4:5]
	v_add_f64 v[33:34], v[20:21], v[8:9]
	v_add_f64 v[31:32], v[26:27], v[6:7]
	v_add_f64 v[35:36], v[22:23], v[10:11]
	v_add_f64 v[4:5], v[4:5], -v[24:25]
	v_add_f64 v[24:25], v[16:17], v[12:13]
	v_add_f64 v[37:38], v[18:19], v[14:15]
	v_add_f64 v[10:11], v[10:11], -v[22:23]
	v_add_f64 v[14:15], v[18:19], -v[14:15]
	v_add_f64 v[39:40], v[33:34], v[29:30]
	v_add_f64 v[8:9], v[8:9], -v[20:21]
	v_add_f64 v[41:42], v[35:36], v[31:32]
	v_add_f64 v[12:13], v[16:17], -v[12:13]
	v_add_f64 v[6:7], v[6:7], -v[26:27]
	;; [unrolled: 1-line block ×3, first 2 shown]
	s_mov_b32 s0, 0x36b3c0b5
	v_add_f64 v[43:44], v[14:15], -v[10:11]
	v_add_f64 v[18:19], v[24:25], v[39:40]
	s_mov_b32 s8, 0xe976ee23
	v_add_f64 v[20:21], v[37:38], v[41:42]
	v_add_f64 v[16:17], v[33:34], -v[29:30]
	v_add_f64 v[26:27], v[35:36], -v[31:32]
	;; [unrolled: 1-line block ×3, first 2 shown]
	v_add_f64 v[35:36], v[14:15], v[10:11]
	v_add_f64 v[39:40], v[12:13], v[8:9]
	v_add_f64 v[41:42], v[12:13], -v[8:9]
	v_add_f64 v[0:1], v[0:1], v[18:19]
	s_mov_b32 s1, 0x3fac98ee
	s_mov_b32 s9, 0xbfe11646
	v_add_f64 v[10:11], v[10:11], -v[6:7]
	v_mul_f64 v[45:46], v[22:23], s[0:1]
	v_mul_f64 v[43:44], v[43:44], s[8:9]
	v_add_f64 v[24:25], v[29:30], -v[24:25]
	s_mov_b32 s4, 0xaaaaaaaa
	v_add_f64 v[2:3], v[2:3], v[20:21]
	s_mov_b32 s5, 0xbff2aaaa
	s_mov_b32 s14, 0x429ad128
	;; [unrolled: 1-line block ×3, first 2 shown]
	v_add_f64 v[8:9], v[8:9], -v[4:5]
	v_add_f64 v[35:36], v[35:36], v[6:7]
	v_fma_f64 v[47:48], v[18:19], s[4:5], v[0:1]
	s_mov_b32 s7, 0x3fe77f67
	s_mov_b32 s6, 0x5476071b
	v_mul_f64 v[18:19], v[33:34], s[0:1]
	s_mov_b32 s15, 0x3febfeb5
	v_mul_f64 v[41:42], v[41:42], s[8:9]
	v_add_f64 v[39:40], v[39:40], v[4:5]
	v_add_f64 v[4:5], v[4:5], -v[12:13]
	v_add_f64 v[6:7], v[6:7], -v[14:15]
	s_mov_b32 s17, 0x3fe948f6
	v_fma_f64 v[45:46], v[16:17], s[6:7], -v[45:46]
	v_fma_f64 v[49:50], v[10:11], s[14:15], -v[43:44]
	v_add_f64 v[12:13], v[31:32], -v[37:38]
	v_mul_f64 v[14:15], v[24:25], s[16:17]
	v_mul_f64 v[10:11], v[10:11], s[14:15]
	v_fma_f64 v[57:58], v[20:21], s[4:5], v[2:3]
	s_mov_b32 s4, 0x37c3f68c
	s_mov_b32 s9, 0x3fd5d0dc
	;; [unrolled: 1-line block ×3, first 2 shown]
	v_fma_f64 v[18:19], v[26:27], s[6:7], -v[18:19]
	s_mov_b32 s5, 0x3fdc38aa
	v_fma_f64 v[24:25], v[4:5], s[8:9], v[41:42]
	v_fma_f64 v[29:30], v[6:7], s[8:9], v[43:44]
	s_mov_b32 s9, 0xbfd5d0dc
	s_mov_b32 s7, 0xbfe77f67
	v_add_f64 v[20:21], v[45:46], v[47:48]
	v_fma_f64 v[45:46], v[35:36], s[4:5], v[49:50]
	v_fma_f64 v[49:50], v[8:9], s[14:15], -v[41:42]
	v_mul_f64 v[8:9], v[8:9], s[14:15]
	v_mul_f64 v[12:13], v[12:13], s[16:17]
	v_fma_f64 v[16:17], v[16:17], s[6:7], -v[14:15]
	v_fma_f64 v[6:7], v[6:7], s[8:9], -v[10:11]
	v_add_f64 v[10:11], v[18:19], v[57:58]
	v_fma_f64 v[14:15], v[22:23], s[0:1], v[14:15]
	v_fma_f64 v[29:30], v[35:36], s[4:5], v[29:30]
	v_fma_f64 v[8:9], v[4:5], s[8:9], -v[8:9]
	v_fma_f64 v[18:19], v[26:27], s[6:7], -v[12:13]
	v_fma_f64 v[26:27], v[39:40], s[4:5], v[49:50]
	v_add_f64 v[31:32], v[16:17], v[47:48]
	v_fma_f64 v[37:38], v[35:36], s[4:5], v[6:7]
	v_fma_f64 v[12:13], v[33:34], s[0:1], v[12:13]
	s_mov_b32 s0, 0xaf286bcb
	v_add_f64 v[4:5], v[20:21], -v[45:46]
	v_fma_f64 v[41:42], v[39:40], s[4:5], v[8:9]
	v_add_f64 v[22:23], v[18:19], v[57:58]
	v_add_f64 v[6:7], v[26:27], v[10:11]
	;; [unrolled: 1-line block ×3, first 2 shown]
	v_add_f64 v[18:19], v[10:11], -v[26:27]
	v_add_f64 v[8:9], v[37:38], v[31:32]
	v_add_f64 v[26:27], v[14:15], v[47:48]
	v_add_f64 v[20:21], v[31:32], -v[37:38]
	v_add_f64 v[31:32], v[12:13], v[57:58]
	v_mul_hi_u32 v14, v28, s0
	v_fma_f64 v[33:34], v[39:40], s[4:5], v[24:25]
	v_add_f64 v[10:11], v[22:23], -v[41:42]
	v_add_f64 v[22:23], v[41:42], v[22:23]
	v_sub_u32_e32 v15, v28, v14
	v_lshrrev_b32_e32 v15, 1, v15
	v_add_u32_e32 v14, v15, v14
	v_lshrrev_b32_e32 v14, 4, v14
	v_add_f64 v[12:13], v[29:30], v[26:27]
	v_mul_lo_u32 v35, v14, 19
	v_add_f64 v[14:15], v[31:32], -v[33:34]
	s_movk_i32 s0, 0x70
	v_add_f64 v[24:25], v[26:27], -v[29:30]
	v_sub_u32_e32 v28, v28, v35
	v_add_f64 v[26:27], v[33:34], v[31:32]
	v_mul_u32_u24_e32 v29, 0x5b, v28
	v_mad_u32_u24 v28, v56, s0, 0
	v_lshl_add_u32 v30, v29, 4, v28
	ds_write_b128 v30, v[0:3]
	ds_write_b128 v30, v[12:15] offset:16
	ds_write_b128 v30, v[8:11] offset:32
	;; [unrolled: 1-line block ×6, first 2 shown]
	s_load_dwordx2 s[4:5], s[2:3], 0x0
	v_cmp_gt_u32_e64 s[0:1], 7, v56
	s_waitcnt lgkmcnt(0)
	s_barrier
	s_waitcnt lgkmcnt(0)
                                        ; implicit-def: $vgpr50_vgpr51
                                        ; implicit-def: $vgpr46_vgpr47
                                        ; implicit-def: $vgpr38_vgpr39
                                        ; implicit-def: $vgpr42_vgpr43
                                        ; implicit-def: $vgpr34_vgpr35
                                        ; implicit-def: $vgpr30_vgpr31
	s_and_saveexec_b64 s[2:3], s[0:1]
	s_cbranch_execz .LBB0_14
; %bb.13:
	v_lshlrev_b32_e32 v0, 4, v29
	v_lshlrev_b32_e32 v1, 4, v56
	v_mul_i32_i24_e32 v2, 0xffffffa0, v56
	v_add3_u32 v1, 0, v0, v1
	v_add3_u32 v48, v28, v2, v0
	ds_read_b128 v[0:3], v1
	ds_read_b128 v[12:15], v48 offset:112
	ds_read_b128 v[8:11], v48 offset:224
	;; [unrolled: 1-line block ×12, first 2 shown]
.LBB0_14:
	s_or_b64 exec, exec, s[2:3]
	v_cmp_gt_u32_e64 s[2:3], 7, v56
	s_and_b64 s[2:3], vcc, s[2:3]
	s_and_saveexec_b64 s[6:7], s[2:3]
	s_cbranch_execz .LBB0_16
; %bb.15:
	v_add_u32_e32 v57, -7, v56
	v_cndmask_b32_e64 v57, v57, v56, s[0:1]
	v_mul_i32_i24_e32 v57, 12, v57
	v_mov_b32_e32 v58, 0
	v_lshlrev_b64 v[59:60], 4, v[57:58]
	v_mov_b32_e32 v61, s13
	v_add_co_u32_e32 v63, vcc, s12, v59
	v_addc_co_u32_e32 v64, vcc, v61, v60, vcc
	global_load_dwordx4 v[59:62], v[63:64], off offset:80
	global_load_dwordx4 v[65:68], v[63:64], off offset:96
	;; [unrolled: 1-line block ×9, first 2 shown]
	global_load_dwordx4 v[107:110], v[63:64], off
	global_load_dwordx4 v[117:120], v[63:64], off offset:176
	global_load_dwordx4 v[121:124], v[63:64], off offset:160
	s_mov_b32 s0, 0x93053d00
	s_mov_b32 s1, 0xbfef11f4
	;; [unrolled: 1-line block ×36, first 2 shown]
	v_mul_lo_u32 v57, s5, v54
	v_mul_lo_u32 v55, s4, v55
	s_waitcnt vmcnt(11) lgkmcnt(6)
	v_mul_f64 v[63:64], v[26:27], v[59:60]
	v_mul_f64 v[26:27], v[26:27], v[61:62]
	s_waitcnt vmcnt(10) lgkmcnt(5)
	v_mul_f64 v[81:82], v[30:31], v[65:66]
	v_mul_f64 v[30:31], v[30:31], v[67:68]
	s_waitcnt vmcnt(9)
	v_mul_f64 v[83:84], v[22:23], v[69:70]
	s_waitcnt vmcnt(8) lgkmcnt(4)
	v_mul_f64 v[85:86], v[34:35], v[73:74]
	v_mul_f64 v[34:35], v[34:35], v[75:76]
	s_waitcnt vmcnt(7)
	v_mul_f64 v[91:92], v[18:19], v[77:78]
	s_waitcnt vmcnt(5)
	;; [unrolled: 2-line block ×3, first 2 shown]
	v_mul_f64 v[113:114], v[14:15], v[107:108]
	s_waitcnt vmcnt(1) lgkmcnt(0)
	v_mul_f64 v[131:132], v[50:51], v[117:118]
	v_mul_f64 v[129:130], v[10:11], v[103:104]
	s_waitcnt vmcnt(0)
	v_mul_f64 v[133:134], v[46:47], v[121:122]
	v_mul_f64 v[14:15], v[14:15], v[109:110]
	;; [unrolled: 1-line block ×3, first 2 shown]
	v_fma_f64 v[61:62], v[24:25], v[61:62], v[63:64]
	v_fma_f64 v[63:64], v[24:25], v[59:60], -v[26:27]
	v_fma_f64 v[50:51], v[28:29], v[67:68], v[81:82]
	v_fma_f64 v[59:60], v[28:29], v[65:66], -v[30:31]
	v_fma_f64 v[113:114], v[12:13], v[109:110], v[113:114]
	v_fma_f64 v[28:29], v[48:49], v[119:120], v[131:132]
	v_mul_f64 v[97:98], v[42:43], v[87:88]
	v_mul_f64 v[111:112], v[42:43], v[89:90]
	;; [unrolled: 1-line block ×7, first 2 shown]
	v_fma_f64 v[65:66], v[20:21], v[71:72], v[83:84]
	v_fma_f64 v[42:43], v[32:33], v[75:76], v[85:86]
	v_fma_f64 v[46:47], v[32:33], v[73:74], -v[34:35]
	v_fma_f64 v[83:84], v[16:17], v[79:80], v[91:92]
	v_fma_f64 v[91:92], v[4:5], v[95:96], v[115:116]
	;; [unrolled: 1-line block ×3, first 2 shown]
	v_fma_f64 v[115:116], v[12:13], v[107:108], -v[14:15]
	v_fma_f64 v[30:31], v[48:49], v[117:118], -v[137:138]
	v_fma_f64 v[32:33], v[44:45], v[123:124], v[133:134]
	v_add_f64 v[129:130], v[113:114], v[28:29]
	v_fma_f64 v[38:39], v[40:41], v[89:90], v[97:98]
	v_fma_f64 v[97:98], v[8:9], v[103:104], -v[10:11]
	v_fma_f64 v[34:35], v[44:45], v[121:122], -v[135:136]
	v_fma_f64 v[93:94], v[4:5], v[93:94], -v[6:7]
	v_fma_f64 v[44:45], v[36:37], v[101:102], v[125:126]
	v_fma_f64 v[36:37], v[36:37], v[99:100], -v[127:128]
	v_add_f64 v[121:122], v[115:116], -v[30:31]
	v_add_f64 v[127:128], v[113:114], -v[28:29]
	v_add_f64 v[117:118], v[95:96], v[32:33]
	v_mul_f64 v[4:5], v[129:130], s[0:1]
	v_mul_f64 v[18:19], v[18:19], v[79:80]
	v_fma_f64 v[40:41], v[40:41], v[87:88], -v[111:112]
	v_add_f64 v[81:82], v[97:98], -v[34:35]
	v_add_f64 v[123:124], v[115:116], v[30:31]
	v_add_f64 v[111:112], v[95:96], -v[32:33]
	v_add_f64 v[109:110], v[91:92], v[44:45]
	v_mul_f64 v[6:7], v[127:128], s[8:9]
	v_mul_f64 v[8:9], v[117:118], s[6:7]
	v_fma_f64 v[10:11], v[121:122], s[2:3], v[4:5]
	v_mul_f64 v[22:23], v[22:23], v[71:72]
	v_fma_f64 v[85:86], v[16:17], v[77:78], -v[18:19]
	v_add_f64 v[71:72], v[97:98], v[34:35]
	v_add_f64 v[77:78], v[93:94], -v[36:37]
	v_add_f64 v[107:108], v[91:92], -v[44:45]
	v_add_f64 v[105:106], v[83:84], v[38:39]
	v_mul_f64 v[12:13], v[111:112], s[14:15]
	v_fma_f64 v[14:15], v[123:124], s[0:1], v[6:7]
	v_mul_f64 v[16:17], v[109:110], s[12:13]
	v_fma_f64 v[18:19], v[81:82], s[24:25], v[8:9]
	v_add_f64 v[10:11], v[2:3], v[10:11]
	v_fma_f64 v[67:68], v[20:21], v[69:70], -v[22:23]
	v_add_f64 v[69:70], v[93:94], v[36:37]
	v_add_f64 v[73:74], v[85:86], -v[40:41]
	v_add_f64 v[101:102], v[65:66], v[42:43]
	v_mul_f64 v[20:21], v[107:108], s[16:17]
	v_fma_f64 v[22:23], v[71:72], s[6:7], v[12:13]
	v_add_f64 v[14:15], v[0:1], v[14:15]
	v_mul_f64 v[24:25], v[105:106], s[18:19]
	v_fma_f64 v[26:27], v[77:78], s[20:21], v[16:17]
	v_add_f64 v[10:11], v[18:19], v[10:11]
	v_fma_f64 v[4:5], v[121:122], s[8:9], v[4:5]
	v_add_f64 v[99:100], v[83:84], -v[38:39]
	v_add_f64 v[75:76], v[67:68], -v[46:47]
	v_fma_f64 v[119:120], v[69:70], s[12:13], v[20:21]
	v_add_f64 v[14:15], v[22:23], v[14:15]
	v_mul_f64 v[22:23], v[101:102], s[26:27]
	v_fma_f64 v[125:126], v[73:74], s[22:23], v[24:25]
	v_add_f64 v[10:11], v[26:27], v[10:11]
	v_add_f64 v[89:90], v[61:62], v[50:51]
	v_fma_f64 v[6:7], v[123:124], s[0:1], -v[6:7]
	v_fma_f64 v[8:9], v[81:82], s[14:15], v[8:9]
	v_add_f64 v[4:5], v[2:3], v[4:5]
	v_add_f64 v[48:49], v[85:86], v[40:41]
	v_add_f64 v[103:104], v[65:66], -v[42:43]
	v_mul_f64 v[18:19], v[99:100], s[36:37]
	v_add_f64 v[87:88], v[63:64], -v[59:60]
	v_add_f64 v[14:15], v[119:120], v[14:15]
	v_fma_f64 v[119:120], v[75:76], s[34:35], v[22:23]
	v_add_f64 v[10:11], v[125:126], v[10:11]
	v_mul_f64 v[133:134], v[89:90], s[30:31]
	v_fma_f64 v[12:13], v[71:72], s[6:7], -v[12:13]
	v_add_f64 v[6:7], v[0:1], v[6:7]
	v_add_f64 v[4:5], v[8:9], v[4:5]
	v_fma_f64 v[8:9], v[77:78], s[16:17], v[16:17]
	v_add_f64 v[79:80], v[67:68], v[46:47]
	v_mul_f64 v[26:27], v[103:104], s[28:29]
	v_fma_f64 v[131:132], v[48:49], s[18:19], v[18:19]
	v_add_f64 v[10:11], v[119:120], v[10:11]
	v_fma_f64 v[119:120], v[87:88], s[38:39], v[133:134]
	v_add_f64 v[12:13], v[12:13], v[6:7]
	v_fma_f64 v[16:17], v[69:70], s[12:13], -v[20:21]
	v_mul_f64 v[20:21], v[129:130], s[12:13]
	v_add_f64 v[4:5], v[8:9], v[4:5]
	v_fma_f64 v[8:9], v[73:74], s[36:37], v[24:25]
	v_mul_f64 v[24:25], v[127:128], s[16:17]
	v_fma_f64 v[125:126], v[79:80], s[26:27], v[26:27]
	v_add_f64 v[14:15], v[131:132], v[14:15]
	v_add_f64 v[6:7], v[119:120], v[10:11]
	v_add_f64 v[119:120], v[61:62], -v[50:51]
	v_add_f64 v[10:11], v[16:17], v[12:13]
	v_fma_f64 v[12:13], v[48:49], s[18:19], -v[18:19]
	v_fma_f64 v[16:17], v[121:122], s[20:21], v[20:21]
	v_mul_f64 v[18:19], v[117:118], s[30:31]
	v_add_f64 v[4:5], v[8:9], v[4:5]
	v_fma_f64 v[8:9], v[123:124], s[12:13], v[24:25]
	v_mul_f64 v[135:136], v[111:112], s[40:41]
	v_add_f64 v[14:15], v[125:126], v[14:15]
	v_add_f64 v[125:126], v[63:64], v[59:60]
	v_mul_f64 v[131:132], v[119:120], s[40:41]
	v_fma_f64 v[22:23], v[75:76], s[28:29], v[22:23]
	v_add_f64 v[10:11], v[12:13], v[10:11]
	v_add_f64 v[12:13], v[2:3], v[16:17]
	v_fma_f64 v[16:17], v[81:82], s[38:39], v[18:19]
	v_mul_f64 v[137:138], v[109:110], s[18:19]
	v_fma_f64 v[26:27], v[79:80], s[26:27], -v[26:27]
	v_add_f64 v[8:9], v[0:1], v[8:9]
	v_fma_f64 v[139:140], v[71:72], s[30:31], v[135:136]
	v_mul_f64 v[141:142], v[107:108], s[22:23]
	v_fma_f64 v[143:144], v[125:126], s[30:31], v[131:132]
	v_add_f64 v[22:23], v[22:23], v[4:5]
	v_add_f64 v[4:5], v[16:17], v[12:13]
	v_fma_f64 v[12:13], v[77:78], s[36:37], v[137:138]
	v_mul_f64 v[16:17], v[105:106], s[0:1]
	v_add_f64 v[26:27], v[26:27], v[10:11]
	v_add_f64 v[8:9], v[139:140], v[8:9]
	v_fma_f64 v[10:11], v[69:70], s[18:19], v[141:142]
	v_mul_f64 v[139:140], v[99:100], s[2:3]
	v_fma_f64 v[133:134], v[87:88], s[40:41], v[133:134]
	v_fma_f64 v[131:132], v[125:126], s[30:31], -v[131:132]
	v_add_f64 v[12:13], v[12:13], v[4:5]
	v_fma_f64 v[145:146], v[73:74], s[8:9], v[16:17]
	v_add_f64 v[4:5], v[143:144], v[14:15]
	v_mul_f64 v[143:144], v[101:102], s[6:7]
	v_add_f64 v[14:15], v[10:11], v[8:9]
	v_fma_f64 v[147:148], v[48:49], s[0:1], v[139:140]
	v_add_f64 v[10:11], v[133:134], v[22:23]
	v_mul_f64 v[22:23], v[103:104], s[14:15]
	v_add_f64 v[8:9], v[131:132], v[26:27]
	v_add_f64 v[12:13], v[145:146], v[12:13]
	v_fma_f64 v[20:21], v[121:122], s[16:17], v[20:21]
	v_fma_f64 v[26:27], v[75:76], s[24:25], v[143:144]
	v_mul_f64 v[131:132], v[89:90], s[26:27]
	v_add_f64 v[14:15], v[147:148], v[14:15]
	v_fma_f64 v[24:25], v[123:124], s[12:13], -v[24:25]
	v_fma_f64 v[133:134], v[79:80], s[6:7], v[22:23]
	v_mul_f64 v[145:146], v[119:120], s[28:29]
	v_fma_f64 v[18:19], v[81:82], s[40:41], v[18:19]
	v_add_f64 v[20:21], v[2:3], v[20:21]
	v_add_f64 v[12:13], v[26:27], v[12:13]
	v_fma_f64 v[26:27], v[87:88], s[34:35], v[131:132]
	v_fma_f64 v[135:136], v[71:72], s[30:31], -v[135:136]
	v_add_f64 v[24:25], v[0:1], v[24:25]
	v_add_f64 v[133:134], v[133:134], v[14:15]
	v_fma_f64 v[147:148], v[125:126], s[26:27], v[145:146]
	v_mul_f64 v[149:150], v[129:130], s[26:27]
	v_add_f64 v[18:19], v[18:19], v[20:21]
	v_fma_f64 v[20:21], v[77:78], s[22:23], v[137:138]
	v_add_f64 v[14:15], v[26:27], v[12:13]
	v_mul_f64 v[26:27], v[127:128], s[28:29]
	v_add_f64 v[24:25], v[135:136], v[24:25]
	v_fma_f64 v[135:136], v[69:70], s[18:19], -v[141:142]
	v_add_f64 v[12:13], v[147:148], v[133:134]
	v_fma_f64 v[133:134], v[121:122], s[34:35], v[149:150]
	v_mul_f64 v[137:138], v[117:118], s[12:13]
	v_add_f64 v[18:19], v[20:21], v[18:19]
	v_fma_f64 v[16:17], v[73:74], s[2:3], v[16:17]
	v_fma_f64 v[20:21], v[123:124], s[26:27], v[26:27]
	v_mul_f64 v[141:142], v[111:112], s[20:21]
	v_add_f64 v[24:25], v[135:136], v[24:25]
	v_fma_f64 v[135:136], v[48:49], s[0:1], -v[139:140]
	v_add_f64 v[133:134], v[2:3], v[133:134]
	v_fma_f64 v[139:140], v[81:82], s[16:17], v[137:138]
	v_mul_f64 v[147:148], v[109:110], s[6:7]
	v_add_f64 v[16:17], v[16:17], v[18:19]
	v_add_f64 v[18:19], v[0:1], v[20:21]
	v_fma_f64 v[20:21], v[71:72], s[12:13], v[141:142]
	v_mul_f64 v[151:152], v[107:108], s[14:15]
	v_fma_f64 v[143:144], v[75:76], s[14:15], v[143:144]
	v_add_f64 v[24:25], v[135:136], v[24:25]
	v_add_f64 v[133:134], v[139:140], v[133:134]
	v_fma_f64 v[135:136], v[77:78], s[24:25], v[147:148]
	v_mul_f64 v[139:140], v[105:106], s[30:31]
	v_fma_f64 v[22:23], v[79:80], s[6:7], -v[22:23]
	v_add_f64 v[18:19], v[20:21], v[18:19]
	v_fma_f64 v[20:21], v[69:70], s[6:7], v[151:152]
	v_mul_f64 v[153:154], v[99:100], s[38:39]
	v_add_f64 v[16:17], v[143:144], v[16:17]
	v_fma_f64 v[131:132], v[87:88], s[28:29], v[131:132]
	v_add_f64 v[133:134], v[135:136], v[133:134]
	v_fma_f64 v[135:136], v[73:74], s[40:41], v[139:140]
	v_add_f64 v[22:23], v[22:23], v[24:25]
	v_mul_f64 v[24:25], v[101:102], s[0:1]
	v_add_f64 v[20:21], v[20:21], v[18:19]
	v_fma_f64 v[143:144], v[48:49], s[30:31], v[153:154]
	v_mul_f64 v[155:156], v[103:104], s[2:3]
	v_fma_f64 v[145:146], v[125:126], s[26:27], -v[145:146]
	v_add_f64 v[18:19], v[131:132], v[16:17]
	v_add_f64 v[131:132], v[135:136], v[133:134]
	v_fma_f64 v[133:134], v[121:122], s[28:29], v[149:150]
	v_fma_f64 v[135:136], v[75:76], s[8:9], v[24:25]
	v_mul_f64 v[149:150], v[89:90], s[18:19]
	v_add_f64 v[20:21], v[143:144], v[20:21]
	v_fma_f64 v[26:27], v[123:124], s[26:27], -v[26:27]
	v_fma_f64 v[143:144], v[79:80], s[0:1], v[155:156]
	v_add_f64 v[16:17], v[145:146], v[22:23]
	v_fma_f64 v[22:23], v[81:82], s[20:21], v[137:138]
	v_add_f64 v[133:134], v[2:3], v[133:134]
	v_add_f64 v[131:132], v[135:136], v[131:132]
	v_fma_f64 v[135:136], v[87:88], s[22:23], v[149:150]
	v_fma_f64 v[137:138], v[71:72], s[12:13], -v[141:142]
	v_add_f64 v[26:27], v[0:1], v[26:27]
	v_add_f64 v[20:21], v[143:144], v[20:21]
	v_mul_f64 v[143:144], v[129:130], s[30:31]
	v_fma_f64 v[145:146], v[77:78], s[14:15], v[147:148]
	v_add_f64 v[133:134], v[22:23], v[133:134]
	v_fma_f64 v[139:140], v[73:74], s[38:39], v[139:140]
	v_add_f64 v[22:23], v[135:136], v[131:132]
	v_mul_f64 v[131:132], v[127:128], s[38:39]
	v_add_f64 v[26:27], v[137:138], v[26:27]
	v_fma_f64 v[135:136], v[69:70], s[6:7], -v[151:152]
	v_fma_f64 v[147:148], v[121:122], s[40:41], v[143:144]
	v_mul_f64 v[151:152], v[117:118], s[0:1]
	v_add_f64 v[133:134], v[145:146], v[133:134]
	v_mul_f64 v[157:158], v[111:112], s[8:9]
	v_mul_f64 v[159:160], v[109:110], s[26:27]
	v_fma_f64 v[145:146], v[123:124], s[30:31], v[131:132]
	v_mul_f64 v[141:142], v[119:120], s[36:37]
	v_add_f64 v[26:27], v[135:136], v[26:27]
	v_fma_f64 v[135:136], v[48:49], s[30:31], -v[153:154]
	v_add_f64 v[147:148], v[2:3], v[147:148]
	v_fma_f64 v[153:154], v[81:82], s[2:3], v[151:152]
	v_add_f64 v[133:134], v[139:140], v[133:134]
	v_mul_f64 v[161:162], v[107:108], s[34:35]
	v_add_f64 v[139:140], v[0:1], v[145:146]
	v_fma_f64 v[145:146], v[71:72], s[0:1], v[157:158]
	v_fma_f64 v[24:25], v[75:76], s[2:3], v[24:25]
	v_add_f64 v[26:27], v[135:136], v[26:27]
	v_fma_f64 v[137:138], v[125:126], s[18:19], v[141:142]
	v_add_f64 v[135:136], v[153:154], v[147:148]
	v_fma_f64 v[147:148], v[77:78], s[28:29], v[159:160]
	v_mul_f64 v[153:154], v[105:106], s[6:7]
	v_fma_f64 v[155:156], v[79:80], s[0:1], -v[155:156]
	v_add_f64 v[139:140], v[145:146], v[139:140]
	v_fma_f64 v[145:146], v[69:70], s[26:27], v[161:162]
	v_mul_f64 v[163:164], v[99:100], s[14:15]
	v_add_f64 v[24:25], v[24:25], v[133:134]
	v_add_f64 v[20:21], v[137:138], v[20:21]
	;; [unrolled: 1-line block ×3, first 2 shown]
	v_fma_f64 v[135:136], v[73:74], s[24:25], v[153:154]
	v_mul_f64 v[147:148], v[101:102], s[18:19]
	v_add_f64 v[137:138], v[155:156], v[26:27]
	v_add_f64 v[26:27], v[145:146], v[139:140]
	v_fma_f64 v[139:140], v[48:49], s[6:7], v[163:164]
	v_mul_f64 v[145:146], v[103:104], s[22:23]
	v_fma_f64 v[149:150], v[87:88], s[36:37], v[149:150]
	v_mul_f64 v[155:156], v[89:90], s[12:13]
	v_add_f64 v[133:134], v[135:136], v[133:134]
	v_fma_f64 v[135:136], v[121:122], s[38:39], v[143:144]
	v_fma_f64 v[143:144], v[75:76], s[36:37], v[147:148]
	v_fma_f64 v[141:142], v[125:126], s[18:19], -v[141:142]
	v_add_f64 v[139:140], v[139:140], v[26:27]
	v_fma_f64 v[165:166], v[79:80], s[18:19], v[145:146]
	v_add_f64 v[26:27], v[149:150], v[24:25]
	v_mul_f64 v[149:150], v[119:120], s[16:17]
	v_fma_f64 v[151:152], v[81:82], s[8:9], v[151:152]
	v_add_f64 v[135:136], v[2:3], v[135:136]
	v_add_f64 v[133:134], v[143:144], v[133:134]
	v_fma_f64 v[143:144], v[87:88], s[20:21], v[155:156]
	v_add_f64 v[24:25], v[141:142], v[137:138]
	v_add_f64 v[137:138], v[165:166], v[139:140]
	v_fma_f64 v[131:132], v[123:124], s[30:31], -v[131:132]
	v_fma_f64 v[139:140], v[125:126], s[12:13], v[149:150]
	v_mul_f64 v[141:142], v[129:130], s[18:19]
	v_add_f64 v[135:136], v[151:152], v[135:136]
	v_fma_f64 v[151:152], v[77:78], s[34:35], v[159:160]
	v_add_f64 v[133:134], v[143:144], v[133:134]
	v_mul_f64 v[143:144], v[127:128], s[22:23]
	v_fma_f64 v[157:158], v[71:72], s[0:1], -v[157:158]
	v_add_f64 v[159:160], v[0:1], v[131:132]
	v_add_f64 v[131:132], v[139:140], v[137:138]
	v_fma_f64 v[137:138], v[121:122], s[36:37], v[141:142]
	v_mul_f64 v[139:140], v[117:118], s[26:27]
	v_add_f64 v[135:136], v[151:152], v[135:136]
	v_fma_f64 v[151:152], v[73:74], s[14:15], v[153:154]
	v_fma_f64 v[153:154], v[123:124], s[18:19], v[143:144]
	v_mul_f64 v[165:166], v[111:112], s[28:29]
	v_add_f64 v[157:158], v[157:158], v[159:160]
	v_fma_f64 v[159:160], v[69:70], s[26:27], -v[161:162]
	v_add_f64 v[137:138], v[2:3], v[137:138]
	v_fma_f64 v[161:162], v[81:82], s[34:35], v[139:140]
	v_mul_f64 v[167:168], v[109:110], s[0:1]
	v_add_f64 v[135:136], v[151:152], v[135:136]
	v_add_f64 v[151:152], v[0:1], v[153:154]
	v_fma_f64 v[153:154], v[71:72], s[26:27], v[165:166]
	v_mul_f64 v[169:170], v[107:108], s[8:9]
	v_add_f64 v[157:158], v[159:160], v[157:158]
	v_fma_f64 v[159:160], v[48:49], s[6:7], -v[163:164]
	v_add_f64 v[137:138], v[161:162], v[137:138]
	v_fma_f64 v[161:162], v[77:78], s[2:3], v[167:168]
	v_mul_f64 v[163:164], v[105:106], s[12:13]
	v_fma_f64 v[147:148], v[75:76], s[22:23], v[147:148]
	v_add_f64 v[151:152], v[153:154], v[151:152]
	v_fma_f64 v[153:154], v[69:70], s[0:1], v[169:170]
	v_mul_f64 v[171:172], v[99:100], s[20:21]
	v_add_f64 v[157:158], v[159:160], v[157:158]
	v_fma_f64 v[145:146], v[79:80], s[18:19], -v[145:146]
	v_add_f64 v[137:138], v[161:162], v[137:138]
	v_fma_f64 v[159:160], v[73:74], s[16:17], v[163:164]
	v_mul_f64 v[161:162], v[101:102], s[30:31]
	v_add_f64 v[135:136], v[147:148], v[135:136]
	v_add_f64 v[147:148], v[153:154], v[151:152]
	v_fma_f64 v[151:152], v[48:49], s[12:13], v[171:172]
	v_mul_f64 v[153:154], v[103:104], s[40:41]
	v_add_f64 v[145:146], v[145:146], v[157:158]
	v_fma_f64 v[155:156], v[87:88], s[16:17], v[155:156]
	v_add_f64 v[157:158], v[159:160], v[137:138]
	v_fma_f64 v[159:160], v[75:76], s[38:39], v[161:162]
	v_fma_f64 v[141:142], v[121:122], s[22:23], v[141:142]
	v_mul_f64 v[173:174], v[89:90], s[6:7]
	v_add_f64 v[147:148], v[151:152], v[147:148]
	v_fma_f64 v[151:152], v[79:80], s[30:31], v[153:154]
	v_fma_f64 v[149:150], v[125:126], s[12:13], -v[149:150]
	v_add_f64 v[137:138], v[155:156], v[135:136]
	v_mul_f64 v[155:156], v[119:120], s[14:15]
	v_add_f64 v[157:158], v[159:160], v[157:158]
	v_mul_f64 v[159:160], v[129:130], s[6:7]
	v_add_f64 v[129:130], v[2:3], v[141:142]
	v_fma_f64 v[139:140], v[81:82], s[28:29], v[139:140]
	v_add_f64 v[141:142], v[151:152], v[147:148]
	v_fma_f64 v[147:148], v[87:88], s[24:25], v[173:174]
	v_mul_f64 v[151:152], v[127:128], s[24:25]
	v_fma_f64 v[127:128], v[125:126], s[6:7], v[155:156]
	v_add_f64 v[135:136], v[149:150], v[145:146]
	v_fma_f64 v[145:146], v[121:122], s[14:15], v[159:160]
	v_fma_f64 v[143:144], v[123:124], s[18:19], -v[143:144]
	v_fma_f64 v[121:122], v[121:122], s[24:25], v[159:160]
	v_add_f64 v[139:140], v[139:140], v[129:130]
	v_add_f64 v[129:130], v[147:148], v[157:158]
	v_fma_f64 v[147:148], v[123:124], s[6:7], v[151:152]
	v_fma_f64 v[123:124], v[123:124], s[6:7], -v[151:152]
	v_fma_f64 v[149:150], v[77:78], s[8:9], v[167:168]
	v_add_f64 v[127:128], v[127:128], v[141:142]
	v_add_f64 v[141:142], v[0:1], v[143:144]
	;; [unrolled: 1-line block ×9, first 2 shown]
	v_fma_f64 v[145:146], v[73:74], s[20:21], v[163:164]
	v_fma_f64 v[149:150], v[71:72], s[26:27], -v[165:166]
	v_mul_f64 v[117:118], v[117:118], s[18:19]
	v_add_f64 v[2:3], v[95:96], v[2:3]
	v_mul_f64 v[109:110], v[109:110], s[30:31]
	v_mul_f64 v[111:112], v[111:112], s[22:23]
	v_add_f64 v[0:1], v[97:98], v[0:1]
	v_mul_f64 v[97:98], v[107:108], s[38:39]
	v_add_f64 v[113:114], v[145:146], v[139:140]
	v_add_f64 v[115:116], v[149:150], v[141:142]
	v_fma_f64 v[139:140], v[69:70], s[0:1], -v[169:170]
	v_fma_f64 v[141:142], v[81:82], s[36:37], v[117:118]
	v_add_f64 v[2:3], v[91:92], v[2:3]
	v_mul_f64 v[105:106], v[105:106], s[26:27]
	v_add_f64 v[0:1], v[93:94], v[0:1]
	v_fma_f64 v[95:96], v[71:72], s[18:19], v[111:112]
	v_fma_f64 v[145:146], v[75:76], s[40:41], v[161:162]
	;; [unrolled: 1-line block ×3, first 2 shown]
	v_add_f64 v[107:108], v[139:140], v[115:116]
	v_add_f64 v[115:116], v[141:142], v[143:144]
	v_fma_f64 v[139:140], v[77:78], s[40:41], v[109:110]
	v_add_f64 v[2:3], v[83:84], v[2:3]
	v_add_f64 v[0:1], v[85:86], v[0:1]
	v_mul_f64 v[83:84], v[101:102], s[12:13]
	v_add_f64 v[91:92], v[95:96], v[147:148]
	v_mul_f64 v[95:96], v[99:100], s[28:29]
	v_fma_f64 v[71:72], v[71:72], s[18:19], -v[111:112]
	v_fma_f64 v[77:78], v[77:78], s[38:39], v[109:110]
	v_add_f64 v[115:116], v[139:140], v[115:116]
	v_fma_f64 v[139:140], v[73:74], s[34:35], v[105:106]
	v_add_f64 v[2:3], v[65:66], v[2:3]
	v_add_f64 v[0:1], v[67:68], v[0:1]
	v_fma_f64 v[67:68], v[75:76], s[20:21], v[83:84]
	v_add_f64 v[85:86], v[93:94], v[91:92]
	v_mul_f64 v[93:94], v[103:104], s[16:17]
	v_add_f64 v[103:104], v[145:146], v[113:114]
	v_fma_f64 v[91:92], v[48:49], s[26:27], v[95:96]
	v_add_f64 v[65:66], v[139:140], v[115:116]
	v_add_f64 v[2:3], v[61:62], v[2:3]
	;; [unrolled: 1-line block ×3, first 2 shown]
	v_fma_f64 v[61:62], v[81:82], s[22:23], v[117:118]
	v_fma_f64 v[99:100], v[48:49], s[12:13], -v[171:172]
	v_fma_f64 v[48:49], v[48:49], s[26:27], -v[95:96]
	;; [unrolled: 1-line block ×3, first 2 shown]
	v_add_f64 v[85:86], v[91:92], v[85:86]
	v_add_f64 v[63:64], v[67:68], v[65:66]
	v_fma_f64 v[65:66], v[87:88], s[14:15], v[173:174]
	v_add_f64 v[50:51], v[50:51], v[2:3]
	v_add_f64 v[0:1], v[59:60], v[0:1]
	;; [unrolled: 1-line block ×3, first 2 shown]
	v_fma_f64 v[91:92], v[79:80], s[12:13], v[93:94]
	v_add_f64 v[99:100], v[99:100], v[107:108]
	v_fma_f64 v[61:62], v[125:126], s[6:7], -v[155:156]
	v_add_f64 v[2:3], v[65:66], v[103:104]
	v_fma_f64 v[65:66], v[69:70], s[30:31], -v[97:98]
	v_add_f64 v[69:70], v[71:72], v[123:124]
	v_add_f64 v[42:43], v[42:43], v[50:51]
	;; [unrolled: 1-line block ×3, first 2 shown]
	v_fma_f64 v[71:72], v[73:74], s[28:29], v[105:106]
	v_add_f64 v[46:47], v[77:78], v[59:60]
	v_mul_f64 v[50:51], v[89:90], s[0:1]
	v_mul_f64 v[59:60], v[119:120], s[8:9]
	v_add_f64 v[67:68], v[91:92], v[85:86]
	v_add_f64 v[65:66], v[65:66], v[69:70]
	;; [unrolled: 1-line block ×4, first 2 shown]
	v_fma_f64 v[69:70], v[75:76], s[16:17], v[83:84]
	v_add_f64 v[40:41], v[71:72], v[46:47]
	v_fma_f64 v[42:43], v[87:88], s[2:3], v[50:51]
	v_fma_f64 v[46:47], v[125:126], s[0:1], v[59:60]
	v_fma_f64 v[71:72], v[79:80], s[12:13], -v[93:94]
	v_add_f64 v[48:49], v[48:49], v[65:66]
	v_add_f64 v[44:45], v[44:45], v[38:39]
	;; [unrolled: 1-line block ×3, first 2 shown]
	v_fma_f64 v[50:51], v[87:88], s[8:9], v[50:51]
	v_add_f64 v[40:41], v[69:70], v[40:41]
	v_add_f64 v[38:39], v[42:43], v[63:64]
	;; [unrolled: 1-line block ×3, first 2 shown]
	v_fma_f64 v[42:43], v[125:126], s[0:1], -v[59:60]
	v_add_f64 v[46:47], v[71:72], v[48:49]
	v_add_f64 v[44:45], v[32:33], v[44:45]
	;; [unrolled: 1-line block ×5, first 2 shown]
	v_mad_u64_u32 v[50:51], s[0:1], s4, v54, 0
	v_add_f64 v[32:33], v[42:43], v[46:47]
	v_add3_u32 v51, v51, v55, v57
	v_add_f64 v[42:43], v[28:29], v[44:45]
	v_lshlrev_b64 v[28:29], 4, v[50:51]
	v_add_f64 v[40:41], v[30:31], v[48:49]
	v_mov_b32_e32 v30, s11
	v_add_co_u32_e32 v31, vcc, s10, v28
	v_addc_co_u32_e32 v30, vcc, v30, v29, vcc
	v_lshlrev_b64 v[28:29], 4, v[52:53]
	v_add_f64 v[0:1], v[61:62], v[99:100]
	v_mov_b32_e32 v57, v58
	v_add_co_u32_e32 v31, vcc, v31, v28
	v_addc_co_u32_e32 v30, vcc, v30, v29, vcc
	v_lshlrev_b64 v[28:29], 4, v[56:57]
	v_add_co_u32_e32 v28, vcc, v31, v28
	v_addc_co_u32_e32 v29, vcc, v30, v29, vcc
	global_store_dwordx4 v[28:29], v[40:43], off
	global_store_dwordx4 v[28:29], v[32:35], off offset:112
	global_store_dwordx4 v[28:29], v[0:3], off offset:224
	;; [unrolled: 1-line block ×12, first 2 shown]
.LBB0_16:
	s_endpgm
	.section	.rodata,"a",@progbits
	.p2align	6, 0x0
	.amdhsa_kernel fft_rtc_fwd_len91_factors_7_13_wgs_247_tpt_13_dp_op_CI_CI_unitstride_sbrr_dirReg
		.amdhsa_group_segment_fixed_size 0
		.amdhsa_private_segment_fixed_size 0
		.amdhsa_kernarg_size 104
		.amdhsa_user_sgpr_count 6
		.amdhsa_user_sgpr_private_segment_buffer 1
		.amdhsa_user_sgpr_dispatch_ptr 0
		.amdhsa_user_sgpr_queue_ptr 0
		.amdhsa_user_sgpr_kernarg_segment_ptr 1
		.amdhsa_user_sgpr_dispatch_id 0
		.amdhsa_user_sgpr_flat_scratch_init 0
		.amdhsa_user_sgpr_private_segment_size 0
		.amdhsa_uses_dynamic_stack 0
		.amdhsa_system_sgpr_private_segment_wavefront_offset 0
		.amdhsa_system_sgpr_workgroup_id_x 1
		.amdhsa_system_sgpr_workgroup_id_y 0
		.amdhsa_system_sgpr_workgroup_id_z 0
		.amdhsa_system_sgpr_workgroup_info 0
		.amdhsa_system_vgpr_workitem_id 0
		.amdhsa_next_free_vgpr 175
		.amdhsa_next_free_sgpr 42
		.amdhsa_reserve_vcc 1
		.amdhsa_reserve_flat_scratch 0
		.amdhsa_float_round_mode_32 0
		.amdhsa_float_round_mode_16_64 0
		.amdhsa_float_denorm_mode_32 3
		.amdhsa_float_denorm_mode_16_64 3
		.amdhsa_dx10_clamp 1
		.amdhsa_ieee_mode 1
		.amdhsa_fp16_overflow 0
		.amdhsa_exception_fp_ieee_invalid_op 0
		.amdhsa_exception_fp_denorm_src 0
		.amdhsa_exception_fp_ieee_div_zero 0
		.amdhsa_exception_fp_ieee_overflow 0
		.amdhsa_exception_fp_ieee_underflow 0
		.amdhsa_exception_fp_ieee_inexact 0
		.amdhsa_exception_int_div_zero 0
	.end_amdhsa_kernel
	.text
.Lfunc_end0:
	.size	fft_rtc_fwd_len91_factors_7_13_wgs_247_tpt_13_dp_op_CI_CI_unitstride_sbrr_dirReg, .Lfunc_end0-fft_rtc_fwd_len91_factors_7_13_wgs_247_tpt_13_dp_op_CI_CI_unitstride_sbrr_dirReg
                                        ; -- End function
	.section	.AMDGPU.csdata,"",@progbits
; Kernel info:
; codeLenInByte = 6776
; NumSgprs: 46
; NumVgprs: 175
; ScratchSize: 0
; MemoryBound: 1
; FloatMode: 240
; IeeeMode: 1
; LDSByteSize: 0 bytes/workgroup (compile time only)
; SGPRBlocks: 5
; VGPRBlocks: 43
; NumSGPRsForWavesPerEU: 46
; NumVGPRsForWavesPerEU: 175
; Occupancy: 1
; WaveLimiterHint : 1
; COMPUTE_PGM_RSRC2:SCRATCH_EN: 0
; COMPUTE_PGM_RSRC2:USER_SGPR: 6
; COMPUTE_PGM_RSRC2:TRAP_HANDLER: 0
; COMPUTE_PGM_RSRC2:TGID_X_EN: 1
; COMPUTE_PGM_RSRC2:TGID_Y_EN: 0
; COMPUTE_PGM_RSRC2:TGID_Z_EN: 0
; COMPUTE_PGM_RSRC2:TIDIG_COMP_CNT: 0
	.type	__hip_cuid_b7651fa8b113406d,@object ; @__hip_cuid_b7651fa8b113406d
	.section	.bss,"aw",@nobits
	.globl	__hip_cuid_b7651fa8b113406d
__hip_cuid_b7651fa8b113406d:
	.byte	0                               ; 0x0
	.size	__hip_cuid_b7651fa8b113406d, 1

	.ident	"AMD clang version 19.0.0git (https://github.com/RadeonOpenCompute/llvm-project roc-6.4.0 25133 c7fe45cf4b819c5991fe208aaa96edf142730f1d)"
	.section	".note.GNU-stack","",@progbits
	.addrsig
	.addrsig_sym __hip_cuid_b7651fa8b113406d
	.amdgpu_metadata
---
amdhsa.kernels:
  - .args:
      - .actual_access:  read_only
        .address_space:  global
        .offset:         0
        .size:           8
        .value_kind:     global_buffer
      - .offset:         8
        .size:           8
        .value_kind:     by_value
      - .actual_access:  read_only
        .address_space:  global
        .offset:         16
        .size:           8
        .value_kind:     global_buffer
      - .actual_access:  read_only
        .address_space:  global
        .offset:         24
        .size:           8
        .value_kind:     global_buffer
      - .actual_access:  read_only
        .address_space:  global
        .offset:         32
        .size:           8
        .value_kind:     global_buffer
      - .offset:         40
        .size:           8
        .value_kind:     by_value
      - .actual_access:  read_only
        .address_space:  global
        .offset:         48
        .size:           8
        .value_kind:     global_buffer
      - .actual_access:  read_only
        .address_space:  global
        .offset:         56
        .size:           8
        .value_kind:     global_buffer
      - .offset:         64
        .size:           4
        .value_kind:     by_value
      - .actual_access:  read_only
        .address_space:  global
        .offset:         72
        .size:           8
        .value_kind:     global_buffer
      - .actual_access:  read_only
        .address_space:  global
        .offset:         80
        .size:           8
        .value_kind:     global_buffer
      - .actual_access:  read_only
        .address_space:  global
        .offset:         88
        .size:           8
        .value_kind:     global_buffer
      - .actual_access:  write_only
        .address_space:  global
        .offset:         96
        .size:           8
        .value_kind:     global_buffer
    .group_segment_fixed_size: 0
    .kernarg_segment_align: 8
    .kernarg_segment_size: 104
    .language:       OpenCL C
    .language_version:
      - 2
      - 0
    .max_flat_workgroup_size: 247
    .name:           fft_rtc_fwd_len91_factors_7_13_wgs_247_tpt_13_dp_op_CI_CI_unitstride_sbrr_dirReg
    .private_segment_fixed_size: 0
    .sgpr_count:     46
    .sgpr_spill_count: 0
    .symbol:         fft_rtc_fwd_len91_factors_7_13_wgs_247_tpt_13_dp_op_CI_CI_unitstride_sbrr_dirReg.kd
    .uniform_work_group_size: 1
    .uses_dynamic_stack: false
    .vgpr_count:     175
    .vgpr_spill_count: 0
    .wavefront_size: 64
amdhsa.target:   amdgcn-amd-amdhsa--gfx906
amdhsa.version:
  - 1
  - 2
...

	.end_amdgpu_metadata
